;; amdgpu-corpus repo=ROCm/hip-tests kind=compiled arch=gfx906 opt=O3
	.amdgcn_target "amdgcn-amd-amdhsa--gfx906"
	.amdhsa_code_object_version 6
	.section	.text._ZL19testMakeComplexFuncPfS_P15HIP_vector_typeIfLj2EE,"axG",@progbits,_ZL19testMakeComplexFuncPfS_P15HIP_vector_typeIfLj2EE,comdat
	.globl	_ZL19testMakeComplexFuncPfS_P15HIP_vector_typeIfLj2EE ; -- Begin function _ZL19testMakeComplexFuncPfS_P15HIP_vector_typeIfLj2EE
	.p2align	8
	.type	_ZL19testMakeComplexFuncPfS_P15HIP_vector_typeIfLj2EE,@function
_ZL19testMakeComplexFuncPfS_P15HIP_vector_typeIfLj2EE: ; @_ZL19testMakeComplexFuncPfS_P15HIP_vector_typeIfLj2EE
; %bb.0:
	s_load_dword s7, s[4:5], 0x24
	s_load_dwordx4 s[0:3], s[4:5], 0x0
	s_load_dwordx2 s[8:9], s[4:5], 0x10
	s_waitcnt lgkmcnt(0)
	s_and_b32 s4, s7, 0xffff
	s_mul_i32 s6, s6, s4
	v_add_u32_e32 v0, s6, v0
	v_ashrrev_i32_e32 v1, 31, v0
	v_lshlrev_b64 v[2:3], 2, v[0:1]
	v_mov_b32_e32 v5, s1
	v_add_co_u32_e32 v4, vcc, s0, v2
	v_addc_co_u32_e32 v5, vcc, v5, v3, vcc
	global_load_dword v4, v[4:5], off
	v_mov_b32_e32 v5, s3
	v_add_co_u32_e32 v2, vcc, s2, v2
	v_addc_co_u32_e32 v3, vcc, v5, v3, vcc
	global_load_dword v5, v[2:3], off
	v_lshlrev_b64 v[0:1], 3, v[0:1]
	v_mov_b32_e32 v2, s9
	v_add_co_u32_e32 v0, vcc, s8, v0
	v_addc_co_u32_e32 v1, vcc, v2, v1, vcc
	s_waitcnt vmcnt(0)
	global_store_dwordx2 v[0:1], v[4:5], off
	s_endpgm
	.section	.rodata,"a",@progbits
	.p2align	6, 0x0
	.amdhsa_kernel _ZL19testMakeComplexFuncPfS_P15HIP_vector_typeIfLj2EE
		.amdhsa_group_segment_fixed_size 0
		.amdhsa_private_segment_fixed_size 0
		.amdhsa_kernarg_size 280
		.amdhsa_user_sgpr_count 6
		.amdhsa_user_sgpr_private_segment_buffer 1
		.amdhsa_user_sgpr_dispatch_ptr 0
		.amdhsa_user_sgpr_queue_ptr 0
		.amdhsa_user_sgpr_kernarg_segment_ptr 1
		.amdhsa_user_sgpr_dispatch_id 0
		.amdhsa_user_sgpr_flat_scratch_init 0
		.amdhsa_user_sgpr_private_segment_size 0
		.amdhsa_uses_dynamic_stack 0
		.amdhsa_system_sgpr_private_segment_wavefront_offset 0
		.amdhsa_system_sgpr_workgroup_id_x 1
		.amdhsa_system_sgpr_workgroup_id_y 0
		.amdhsa_system_sgpr_workgroup_id_z 0
		.amdhsa_system_sgpr_workgroup_info 0
		.amdhsa_system_vgpr_workitem_id 0
		.amdhsa_next_free_vgpr 6
		.amdhsa_next_free_sgpr 10
		.amdhsa_reserve_vcc 1
		.amdhsa_reserve_flat_scratch 0
		.amdhsa_float_round_mode_32 0
		.amdhsa_float_round_mode_16_64 0
		.amdhsa_float_denorm_mode_32 3
		.amdhsa_float_denorm_mode_16_64 3
		.amdhsa_dx10_clamp 1
		.amdhsa_ieee_mode 1
		.amdhsa_fp16_overflow 0
		.amdhsa_exception_fp_ieee_invalid_op 0
		.amdhsa_exception_fp_denorm_src 0
		.amdhsa_exception_fp_ieee_div_zero 0
		.amdhsa_exception_fp_ieee_overflow 0
		.amdhsa_exception_fp_ieee_underflow 0
		.amdhsa_exception_fp_ieee_inexact 0
		.amdhsa_exception_int_div_zero 0
	.end_amdhsa_kernel
	.section	.text._ZL19testMakeComplexFuncPfS_P15HIP_vector_typeIfLj2EE,"axG",@progbits,_ZL19testMakeComplexFuncPfS_P15HIP_vector_typeIfLj2EE,comdat
.Lfunc_end0:
	.size	_ZL19testMakeComplexFuncPfS_P15HIP_vector_typeIfLj2EE, .Lfunc_end0-_ZL19testMakeComplexFuncPfS_P15HIP_vector_typeIfLj2EE
                                        ; -- End function
	.set _ZL19testMakeComplexFuncPfS_P15HIP_vector_typeIfLj2EE.num_vgpr, 6
	.set _ZL19testMakeComplexFuncPfS_P15HIP_vector_typeIfLj2EE.num_agpr, 0
	.set _ZL19testMakeComplexFuncPfS_P15HIP_vector_typeIfLj2EE.numbered_sgpr, 10
	.set _ZL19testMakeComplexFuncPfS_P15HIP_vector_typeIfLj2EE.num_named_barrier, 0
	.set _ZL19testMakeComplexFuncPfS_P15HIP_vector_typeIfLj2EE.private_seg_size, 0
	.set _ZL19testMakeComplexFuncPfS_P15HIP_vector_typeIfLj2EE.uses_vcc, 1
	.set _ZL19testMakeComplexFuncPfS_P15HIP_vector_typeIfLj2EE.uses_flat_scratch, 0
	.set _ZL19testMakeComplexFuncPfS_P15HIP_vector_typeIfLj2EE.has_dyn_sized_stack, 0
	.set _ZL19testMakeComplexFuncPfS_P15HIP_vector_typeIfLj2EE.has_recursion, 0
	.set _ZL19testMakeComplexFuncPfS_P15HIP_vector_typeIfLj2EE.has_indirect_call, 0
	.section	.AMDGPU.csdata,"",@progbits
; Kernel info:
; codeLenInByte = 132
; TotalNumSgprs: 14
; NumVgprs: 6
; ScratchSize: 0
; MemoryBound: 0
; FloatMode: 240
; IeeeMode: 1
; LDSByteSize: 0 bytes/workgroup (compile time only)
; SGPRBlocks: 1
; VGPRBlocks: 1
; NumSGPRsForWavesPerEU: 14
; NumVGPRsForWavesPerEU: 6
; Occupancy: 10
; WaveLimiterHint : 0
; COMPUTE_PGM_RSRC2:SCRATCH_EN: 0
; COMPUTE_PGM_RSRC2:USER_SGPR: 6
; COMPUTE_PGM_RSRC2:TRAP_HANDLER: 0
; COMPUTE_PGM_RSRC2:TGID_X_EN: 1
; COMPUTE_PGM_RSRC2:TGID_Y_EN: 0
; COMPUTE_PGM_RSRC2:TGID_Z_EN: 0
; COMPUTE_PGM_RSRC2:TIDIG_COMP_CNT: 0
	.section	.text._ZL19testMakeComplexFuncPdS_P15HIP_vector_typeIdLj2EE,"axG",@progbits,_ZL19testMakeComplexFuncPdS_P15HIP_vector_typeIdLj2EE,comdat
	.globl	_ZL19testMakeComplexFuncPdS_P15HIP_vector_typeIdLj2EE ; -- Begin function _ZL19testMakeComplexFuncPdS_P15HIP_vector_typeIdLj2EE
	.p2align	8
	.type	_ZL19testMakeComplexFuncPdS_P15HIP_vector_typeIdLj2EE,@function
_ZL19testMakeComplexFuncPdS_P15HIP_vector_typeIdLj2EE: ; @_ZL19testMakeComplexFuncPdS_P15HIP_vector_typeIdLj2EE
; %bb.0:
	s_load_dword s7, s[4:5], 0x24
	s_load_dwordx4 s[0:3], s[4:5], 0x0
	s_load_dwordx2 s[8:9], s[4:5], 0x10
	s_waitcnt lgkmcnt(0)
	s_and_b32 s4, s7, 0xffff
	s_mul_i32 s6, s6, s4
	v_add_u32_e32 v4, s6, v0
	v_ashrrev_i32_e32 v5, 31, v4
	v_lshlrev_b64 v[2:3], 3, v[4:5]
	v_mov_b32_e32 v1, s1
	v_add_co_u32_e32 v0, vcc, s0, v2
	v_addc_co_u32_e32 v1, vcc, v1, v3, vcc
	v_mov_b32_e32 v6, s3
	v_add_co_u32_e32 v2, vcc, s2, v2
	v_addc_co_u32_e32 v3, vcc, v6, v3, vcc
	global_load_dwordx2 v[0:1], v[0:1], off
	v_lshlrev_b64 v[4:5], 4, v[4:5]
	global_load_dwordx2 v[2:3], v[2:3], off
	v_mov_b32_e32 v6, s9
	v_add_co_u32_e32 v4, vcc, s8, v4
	v_addc_co_u32_e32 v5, vcc, v6, v5, vcc
	s_waitcnt vmcnt(0)
	global_store_dwordx4 v[4:5], v[0:3], off
	s_endpgm
	.section	.rodata,"a",@progbits
	.p2align	6, 0x0
	.amdhsa_kernel _ZL19testMakeComplexFuncPdS_P15HIP_vector_typeIdLj2EE
		.amdhsa_group_segment_fixed_size 0
		.amdhsa_private_segment_fixed_size 0
		.amdhsa_kernarg_size 280
		.amdhsa_user_sgpr_count 6
		.amdhsa_user_sgpr_private_segment_buffer 1
		.amdhsa_user_sgpr_dispatch_ptr 0
		.amdhsa_user_sgpr_queue_ptr 0
		.amdhsa_user_sgpr_kernarg_segment_ptr 1
		.amdhsa_user_sgpr_dispatch_id 0
		.amdhsa_user_sgpr_flat_scratch_init 0
		.amdhsa_user_sgpr_private_segment_size 0
		.amdhsa_uses_dynamic_stack 0
		.amdhsa_system_sgpr_private_segment_wavefront_offset 0
		.amdhsa_system_sgpr_workgroup_id_x 1
		.amdhsa_system_sgpr_workgroup_id_y 0
		.amdhsa_system_sgpr_workgroup_id_z 0
		.amdhsa_system_sgpr_workgroup_info 0
		.amdhsa_system_vgpr_workitem_id 0
		.amdhsa_next_free_vgpr 7
		.amdhsa_next_free_sgpr 10
		.amdhsa_reserve_vcc 1
		.amdhsa_reserve_flat_scratch 0
		.amdhsa_float_round_mode_32 0
		.amdhsa_float_round_mode_16_64 0
		.amdhsa_float_denorm_mode_32 3
		.amdhsa_float_denorm_mode_16_64 3
		.amdhsa_dx10_clamp 1
		.amdhsa_ieee_mode 1
		.amdhsa_fp16_overflow 0
		.amdhsa_exception_fp_ieee_invalid_op 0
		.amdhsa_exception_fp_denorm_src 0
		.amdhsa_exception_fp_ieee_div_zero 0
		.amdhsa_exception_fp_ieee_overflow 0
		.amdhsa_exception_fp_ieee_underflow 0
		.amdhsa_exception_fp_ieee_inexact 0
		.amdhsa_exception_int_div_zero 0
	.end_amdhsa_kernel
	.section	.text._ZL19testMakeComplexFuncPdS_P15HIP_vector_typeIdLj2EE,"axG",@progbits,_ZL19testMakeComplexFuncPdS_P15HIP_vector_typeIdLj2EE,comdat
.Lfunc_end1:
	.size	_ZL19testMakeComplexFuncPdS_P15HIP_vector_typeIdLj2EE, .Lfunc_end1-_ZL19testMakeComplexFuncPdS_P15HIP_vector_typeIdLj2EE
                                        ; -- End function
	.set _ZL19testMakeComplexFuncPdS_P15HIP_vector_typeIdLj2EE.num_vgpr, 7
	.set _ZL19testMakeComplexFuncPdS_P15HIP_vector_typeIdLj2EE.num_agpr, 0
	.set _ZL19testMakeComplexFuncPdS_P15HIP_vector_typeIdLj2EE.numbered_sgpr, 10
	.set _ZL19testMakeComplexFuncPdS_P15HIP_vector_typeIdLj2EE.num_named_barrier, 0
	.set _ZL19testMakeComplexFuncPdS_P15HIP_vector_typeIdLj2EE.private_seg_size, 0
	.set _ZL19testMakeComplexFuncPdS_P15HIP_vector_typeIdLj2EE.uses_vcc, 1
	.set _ZL19testMakeComplexFuncPdS_P15HIP_vector_typeIdLj2EE.uses_flat_scratch, 0
	.set _ZL19testMakeComplexFuncPdS_P15HIP_vector_typeIdLj2EE.has_dyn_sized_stack, 0
	.set _ZL19testMakeComplexFuncPdS_P15HIP_vector_typeIdLj2EE.has_recursion, 0
	.set _ZL19testMakeComplexFuncPdS_P15HIP_vector_typeIdLj2EE.has_indirect_call, 0
	.section	.AMDGPU.csdata,"",@progbits
; Kernel info:
; codeLenInByte = 132
; TotalNumSgprs: 14
; NumVgprs: 7
; ScratchSize: 0
; MemoryBound: 0
; FloatMode: 240
; IeeeMode: 1
; LDSByteSize: 0 bytes/workgroup (compile time only)
; SGPRBlocks: 1
; VGPRBlocks: 1
; NumSGPRsForWavesPerEU: 14
; NumVGPRsForWavesPerEU: 7
; Occupancy: 10
; WaveLimiterHint : 0
; COMPUTE_PGM_RSRC2:SCRATCH_EN: 0
; COMPUTE_PGM_RSRC2:USER_SGPR: 6
; COMPUTE_PGM_RSRC2:TRAP_HANDLER: 0
; COMPUTE_PGM_RSRC2:TGID_X_EN: 1
; COMPUTE_PGM_RSRC2:TGID_Y_EN: 0
; COMPUTE_PGM_RSRC2:TGID_Z_EN: 0
; COMPUTE_PGM_RSRC2:TIDIG_COMP_CNT: 0
	.section	.text._ZL20testComplexMathFunc1P15HIP_vector_typeIfLj2EES1_S1_15ComplexFuncType,"axG",@progbits,_ZL20testComplexMathFunc1P15HIP_vector_typeIfLj2EES1_S1_15ComplexFuncType,comdat
	.globl	_ZL20testComplexMathFunc1P15HIP_vector_typeIfLj2EES1_S1_15ComplexFuncType ; -- Begin function _ZL20testComplexMathFunc1P15HIP_vector_typeIfLj2EES1_S1_15ComplexFuncType
	.p2align	8
	.type	_ZL20testComplexMathFunc1P15HIP_vector_typeIfLj2EES1_S1_15ComplexFuncType,@function
_ZL20testComplexMathFunc1P15HIP_vector_typeIfLj2EES1_S1_15ComplexFuncType: ; @_ZL20testComplexMathFunc1P15HIP_vector_typeIfLj2EES1_S1_15ComplexFuncType
; %bb.0:
	s_load_dword s0, s[4:5], 0x2c
	s_load_dword s7, s[4:5], 0x18
	s_load_dwordx4 s[8:11], s[4:5], 0x0
	s_load_dwordx2 s[2:3], s[4:5], 0x10
	s_waitcnt lgkmcnt(0)
	s_and_b32 s0, s0, 0xffff
	s_mul_i32 s6, s6, s0
	s_cmp_lt_i32 s7, 2
	v_add_u32_e32 v0, s6, v0
	s_cbranch_scc1 .LBB2_5
; %bb.1:
	s_cmp_gt_i32 s7, 2
	s_cbranch_scc0 .LBB2_6
; %bb.2:
	s_cmp_gt_i32 s7, 3
	s_cbranch_scc0 .LBB2_7
; %bb.3:
	s_cmp_eq_u32 s7, 4
	s_mov_b64 s[4:5], 0
	s_cbranch_scc0 .LBB2_21
; %bb.4:
	v_ashrrev_i32_e32 v1, 31, v0
	v_lshlrev_b64 v[1:2], 3, v[0:1]
	v_mov_b32_e32 v4, s9
	v_add_co_u32_e32 v3, vcc, s8, v1
	v_addc_co_u32_e32 v4, vcc, v4, v2, vcc
	global_load_dwordx2 v[4:5], v[3:4], off
	v_mov_b32_e32 v3, s3
	v_add_co_u32_e32 v1, vcc, s2, v1
	v_addc_co_u32_e32 v2, vcc, v3, v2, vcc
	s_mov_b64 s[0:1], -1
	s_waitcnt vmcnt(0)
	v_xor_b32_e32 v3, 0x80000000, v5
	global_store_dword v[1:2], v4, off
	s_and_b64 vcc, exec, s[4:5]
	s_cbranch_vccnz .LBB2_8
	s_branch .LBB2_9
.LBB2_5:
	s_mov_b64 s[0:1], 0
                                        ; implicit-def: $vgpr3
                                        ; implicit-def: $vgpr1_vgpr2
	s_cbranch_execnz .LBB2_12
	s_branch .LBB2_17
.LBB2_6:
	s_mov_b64 s[0:1], 0
                                        ; implicit-def: $vgpr3
                                        ; implicit-def: $vgpr1_vgpr2
	s_cbranch_execnz .LBB2_10
	s_branch .LBB2_11
.LBB2_7:
	s_mov_b64 s[0:1], 0
                                        ; implicit-def: $vgpr3
                                        ; implicit-def: $vgpr1_vgpr2
	s_cbranch_execz .LBB2_9
.LBB2_8:
	v_ashrrev_i32_e32 v1, 31, v0
	v_lshlrev_b64 v[1:2], 3, v[0:1]
	v_mov_b32_e32 v4, s9
	v_add_co_u32_e32 v3, vcc, s8, v1
	v_addc_co_u32_e32 v4, vcc, v4, v2, vcc
	v_mov_b32_e32 v6, s11
	v_add_co_u32_e32 v5, vcc, s10, v1
	v_addc_co_u32_e32 v6, vcc, v6, v2, vcc
	global_load_dwordx2 v[7:8], v[5:6], off
	global_load_dwordx2 v[9:10], v[3:4], off
	s_waitcnt vmcnt(1)
	v_mul_f32_e32 v3, v8, v8
	s_waitcnt vmcnt(0)
	v_mul_f32_e32 v4, v10, v8
	v_mul_f32_e32 v5, v9, v8
	v_fmac_f32_e32 v3, v7, v7
	v_fmac_f32_e32 v4, v9, v7
	v_fma_f32 v5, v10, v7, -v5
	v_div_scale_f32 v6, s[0:1], v3, v3, v4
	v_div_scale_f32 v7, s[0:1], v3, v3, v5
	v_div_scale_f32 v8, vcc, v4, v3, v4
	v_div_scale_f32 v9, s[0:1], v5, v3, v5
	v_rcp_f32_e32 v10, v6
	v_rcp_f32_e32 v11, v7
	v_fma_f32 v12, -v6, v10, 1.0
	v_fmac_f32_e32 v10, v12, v10
	v_fma_f32 v13, -v7, v11, 1.0
	v_fmac_f32_e32 v11, v13, v11
	v_mul_f32_e32 v12, v8, v10
	v_mul_f32_e32 v13, v9, v11
	v_fma_f32 v14, -v6, v12, v8
	v_fma_f32 v15, -v7, v13, v9
	v_fmac_f32_e32 v12, v14, v10
	v_fmac_f32_e32 v13, v15, v11
	v_fma_f32 v6, -v6, v12, v8
	v_fma_f32 v7, -v7, v13, v9
	v_div_fmas_f32 v6, v6, v10, v12
	s_mov_b64 vcc, s[0:1]
	v_div_fmas_f32 v7, v7, v11, v13
	v_mov_b32_e32 v8, s3
	v_add_co_u32_e32 v1, vcc, s2, v1
	v_addc_co_u32_e32 v2, vcc, v8, v2, vcc
	s_mov_b64 s[0:1], -1
	v_div_fixup_f32 v4, v6, v3, v4
	global_store_dword v[1:2], v4, off
	v_div_fixup_f32 v3, v7, v3, v5
.LBB2_9:
	s_branch .LBB2_11
.LBB2_10:
	v_ashrrev_i32_e32 v1, 31, v0
	v_lshlrev_b64 v[1:2], 3, v[0:1]
	v_mov_b32_e32 v4, s9
	v_add_co_u32_e32 v3, vcc, s8, v1
	v_addc_co_u32_e32 v4, vcc, v4, v2, vcc
	global_load_dwordx2 v[4:5], v[3:4], off
	v_mov_b32_e32 v3, s11
	v_add_co_u32_e32 v6, vcc, s10, v1
	v_addc_co_u32_e32 v7, vcc, v3, v2, vcc
	global_load_dwordx2 v[6:7], v[6:7], off
	v_mov_b32_e32 v3, s3
	v_add_co_u32_e32 v1, vcc, s2, v1
	v_addc_co_u32_e32 v2, vcc, v3, v2, vcc
	s_mov_b64 s[0:1], -1
	s_waitcnt vmcnt(0)
	v_mul_f32_e32 v8, v5, v7
	v_mul_f32_e32 v3, v4, v7
	v_fma_f32 v4, v4, v6, -v8
	v_fmac_f32_e32 v3, v5, v6
	global_store_dword v[1:2], v4, off
.LBB2_11:
	s_branch .LBB2_17
.LBB2_12:
	s_cmp_gt_i32 s7, 0
	s_cbranch_scc0 .LBB2_14
; %bb.13:
	v_ashrrev_i32_e32 v1, 31, v0
	v_lshlrev_b64 v[1:2], 3, v[0:1]
	v_mov_b32_e32 v4, s9
	v_add_co_u32_e32 v3, vcc, s8, v1
	v_addc_co_u32_e32 v4, vcc, v4, v2, vcc
	v_mov_b32_e32 v6, s11
	v_add_co_u32_e32 v5, vcc, s10, v1
	v_addc_co_u32_e32 v6, vcc, v6, v2, vcc
	global_load_dwordx2 v[3:4], v[3:4], off
	v_mov_b32_e32 v7, s3
	global_load_dwordx2 v[5:6], v[5:6], off
	v_add_co_u32_e32 v1, vcc, s2, v1
	v_addc_co_u32_e32 v2, vcc, v7, v2, vcc
	s_mov_b64 s[0:1], -1
	s_waitcnt vmcnt(0)
	v_sub_f32_e32 v5, v3, v5
	v_sub_f32_e32 v3, v4, v6
	global_store_dword v[1:2], v5, off
	s_cbranch_execz .LBB2_15
	s_branch .LBB2_17
.LBB2_14:
                                        ; implicit-def: $vgpr3
                                        ; implicit-def: $vgpr1_vgpr2
.LBB2_15:
	s_cmp_eq_u32 s7, 0
	s_cbranch_scc1 .LBB2_20
; %bb.16:
                                        ; implicit-def: $vgpr3
                                        ; implicit-def: $vgpr1_vgpr2
.LBB2_17:
	s_and_b64 vcc, exec, s[0:1]
	s_cbranch_vccz .LBB2_19
.LBB2_18:
	global_store_dword v[1:2], v3, off offset:4
.LBB2_19:
	s_endpgm
.LBB2_20:
	v_ashrrev_i32_e32 v1, 31, v0
	v_lshlrev_b64 v[1:2], 3, v[0:1]
	v_mov_b32_e32 v0, s9
	v_add_co_u32_e32 v3, vcc, s8, v1
	v_addc_co_u32_e32 v4, vcc, v0, v2, vcc
	v_mov_b32_e32 v0, s11
	v_add_co_u32_e32 v5, vcc, s10, v1
	v_addc_co_u32_e32 v6, vcc, v0, v2, vcc
	global_load_dwordx2 v[3:4], v[3:4], off
	v_mov_b32_e32 v0, s3
	global_load_dwordx2 v[5:6], v[5:6], off
	v_add_co_u32_e32 v1, vcc, s2, v1
	v_addc_co_u32_e32 v2, vcc, v0, v2, vcc
	s_waitcnt vmcnt(0)
	v_add_f32_e32 v0, v3, v5
	v_add_f32_e32 v3, v4, v6
	global_store_dword v[1:2], v0, off
	s_cbranch_execnz .LBB2_18
	s_branch .LBB2_19
.LBB2_21:
                                        ; implicit-def: $vgpr3
                                        ; implicit-def: $vgpr1_vgpr2
	s_mov_b64 s[0:1], 0
	s_and_b64 vcc, exec, s[4:5]
	s_cbranch_vccnz .LBB2_8
	s_branch .LBB2_9
	.section	.rodata,"a",@progbits
	.p2align	6, 0x0
	.amdhsa_kernel _ZL20testComplexMathFunc1P15HIP_vector_typeIfLj2EES1_S1_15ComplexFuncType
		.amdhsa_group_segment_fixed_size 0
		.amdhsa_private_segment_fixed_size 0
		.amdhsa_kernarg_size 288
		.amdhsa_user_sgpr_count 6
		.amdhsa_user_sgpr_private_segment_buffer 1
		.amdhsa_user_sgpr_dispatch_ptr 0
		.amdhsa_user_sgpr_queue_ptr 0
		.amdhsa_user_sgpr_kernarg_segment_ptr 1
		.amdhsa_user_sgpr_dispatch_id 0
		.amdhsa_user_sgpr_flat_scratch_init 0
		.amdhsa_user_sgpr_private_segment_size 0
		.amdhsa_uses_dynamic_stack 0
		.amdhsa_system_sgpr_private_segment_wavefront_offset 0
		.amdhsa_system_sgpr_workgroup_id_x 1
		.amdhsa_system_sgpr_workgroup_id_y 0
		.amdhsa_system_sgpr_workgroup_id_z 0
		.amdhsa_system_sgpr_workgroup_info 0
		.amdhsa_system_vgpr_workitem_id 0
		.amdhsa_next_free_vgpr 16
		.amdhsa_next_free_sgpr 12
		.amdhsa_reserve_vcc 1
		.amdhsa_reserve_flat_scratch 0
		.amdhsa_float_round_mode_32 0
		.amdhsa_float_round_mode_16_64 0
		.amdhsa_float_denorm_mode_32 3
		.amdhsa_float_denorm_mode_16_64 3
		.amdhsa_dx10_clamp 1
		.amdhsa_ieee_mode 1
		.amdhsa_fp16_overflow 0
		.amdhsa_exception_fp_ieee_invalid_op 0
		.amdhsa_exception_fp_denorm_src 0
		.amdhsa_exception_fp_ieee_div_zero 0
		.amdhsa_exception_fp_ieee_overflow 0
		.amdhsa_exception_fp_ieee_underflow 0
		.amdhsa_exception_fp_ieee_inexact 0
		.amdhsa_exception_int_div_zero 0
	.end_amdhsa_kernel
	.section	.text._ZL20testComplexMathFunc1P15HIP_vector_typeIfLj2EES1_S1_15ComplexFuncType,"axG",@progbits,_ZL20testComplexMathFunc1P15HIP_vector_typeIfLj2EES1_S1_15ComplexFuncType,comdat
.Lfunc_end2:
	.size	_ZL20testComplexMathFunc1P15HIP_vector_typeIfLj2EES1_S1_15ComplexFuncType, .Lfunc_end2-_ZL20testComplexMathFunc1P15HIP_vector_typeIfLj2EES1_S1_15ComplexFuncType
                                        ; -- End function
	.set _ZL20testComplexMathFunc1P15HIP_vector_typeIfLj2EES1_S1_15ComplexFuncType.num_vgpr, 16
	.set _ZL20testComplexMathFunc1P15HIP_vector_typeIfLj2EES1_S1_15ComplexFuncType.num_agpr, 0
	.set _ZL20testComplexMathFunc1P15HIP_vector_typeIfLj2EES1_S1_15ComplexFuncType.numbered_sgpr, 12
	.set _ZL20testComplexMathFunc1P15HIP_vector_typeIfLj2EES1_S1_15ComplexFuncType.num_named_barrier, 0
	.set _ZL20testComplexMathFunc1P15HIP_vector_typeIfLj2EES1_S1_15ComplexFuncType.private_seg_size, 0
	.set _ZL20testComplexMathFunc1P15HIP_vector_typeIfLj2EES1_S1_15ComplexFuncType.uses_vcc, 1
	.set _ZL20testComplexMathFunc1P15HIP_vector_typeIfLj2EES1_S1_15ComplexFuncType.uses_flat_scratch, 0
	.set _ZL20testComplexMathFunc1P15HIP_vector_typeIfLj2EES1_S1_15ComplexFuncType.has_dyn_sized_stack, 0
	.set _ZL20testComplexMathFunc1P15HIP_vector_typeIfLj2EES1_S1_15ComplexFuncType.has_recursion, 0
	.set _ZL20testComplexMathFunc1P15HIP_vector_typeIfLj2EES1_S1_15ComplexFuncType.has_indirect_call, 0
	.section	.AMDGPU.csdata,"",@progbits
; Kernel info:
; codeLenInByte = 808
; TotalNumSgprs: 16
; NumVgprs: 16
; ScratchSize: 0
; MemoryBound: 0
; FloatMode: 240
; IeeeMode: 1
; LDSByteSize: 0 bytes/workgroup (compile time only)
; SGPRBlocks: 1
; VGPRBlocks: 3
; NumSGPRsForWavesPerEU: 16
; NumVGPRsForWavesPerEU: 16
; Occupancy: 10
; WaveLimiterHint : 0
; COMPUTE_PGM_RSRC2:SCRATCH_EN: 0
; COMPUTE_PGM_RSRC2:USER_SGPR: 6
; COMPUTE_PGM_RSRC2:TRAP_HANDLER: 0
; COMPUTE_PGM_RSRC2:TGID_X_EN: 1
; COMPUTE_PGM_RSRC2:TGID_Y_EN: 0
; COMPUTE_PGM_RSRC2:TGID_Z_EN: 0
; COMPUTE_PGM_RSRC2:TIDIG_COMP_CNT: 0
	.section	.text._ZL20testComplexMathFunc1P15HIP_vector_typeIdLj2EES1_S1_15ComplexFuncType,"axG",@progbits,_ZL20testComplexMathFunc1P15HIP_vector_typeIdLj2EES1_S1_15ComplexFuncType,comdat
	.globl	_ZL20testComplexMathFunc1P15HIP_vector_typeIdLj2EES1_S1_15ComplexFuncType ; -- Begin function _ZL20testComplexMathFunc1P15HIP_vector_typeIdLj2EES1_S1_15ComplexFuncType
	.p2align	8
	.type	_ZL20testComplexMathFunc1P15HIP_vector_typeIdLj2EES1_S1_15ComplexFuncType,@function
_ZL20testComplexMathFunc1P15HIP_vector_typeIdLj2EES1_S1_15ComplexFuncType: ; @_ZL20testComplexMathFunc1P15HIP_vector_typeIdLj2EES1_S1_15ComplexFuncType
; %bb.0:
	s_load_dword s0, s[4:5], 0x2c
	s_load_dword s7, s[4:5], 0x18
	s_load_dwordx4 s[8:11], s[4:5], 0x0
	s_waitcnt lgkmcnt(0)
	s_and_b32 s0, s0, 0xffff
	s_mul_i32 s6, s6, s0
	s_cmp_lt_i32 s7, 2
	v_add_u32_e32 v4, s6, v0
	s_cbranch_scc1 .LBB3_5
; %bb.1:
	s_cmp_gt_i32 s7, 2
	s_cbranch_scc0 .LBB3_6
; %bb.2:
	s_cmp_gt_i32 s7, 3
	s_cbranch_scc0 .LBB3_7
; %bb.3:
	s_cmp_eq_u32 s7, 4
	s_mov_b64 s[2:3], 0
	s_cbranch_scc0 .LBB3_21
; %bb.4:
	v_ashrrev_i32_e32 v5, 31, v4
	v_lshlrev_b64 v[0:1], 4, v[4:5]
	v_mov_b32_e32 v2, s9
	v_add_co_u32_e32 v0, vcc, s8, v0
	v_addc_co_u32_e32 v1, vcc, v2, v1, vcc
	global_load_dwordx4 v[0:3], v[0:1], off
	s_mov_b64 s[0:1], -1
	s_waitcnt vmcnt(0)
	v_xor_b32_e32 v3, 0x80000000, v3
	s_and_b64 vcc, exec, s[2:3]
	s_cbranch_vccnz .LBB3_8
	s_branch .LBB3_9
.LBB3_5:
	s_mov_b64 s[0:1], 0
                                        ; implicit-def: $vgpr2_vgpr3
	s_cbranch_execnz .LBB3_12
	s_branch .LBB3_17
.LBB3_6:
	s_mov_b64 s[0:1], 0
                                        ; implicit-def: $vgpr2_vgpr3
	s_cbranch_execnz .LBB3_10
	s_branch .LBB3_11
.LBB3_7:
	s_mov_b64 s[0:1], 0
                                        ; implicit-def: $vgpr2_vgpr3
	s_cbranch_execz .LBB3_9
.LBB3_8:
	v_ashrrev_i32_e32 v5, 31, v4
	v_lshlrev_b64 v[0:1], 4, v[4:5]
	v_mov_b32_e32 v2, s9
	v_add_co_u32_e32 v10, vcc, s8, v0
	v_addc_co_u32_e32 v11, vcc, v2, v1, vcc
	v_mov_b32_e32 v2, s11
	v_add_co_u32_e32 v12, vcc, s10, v0
	v_addc_co_u32_e32 v13, vcc, v2, v1, vcc
	global_load_dwordx4 v[0:3], v[12:13], off
	global_load_dwordx4 v[6:9], v[10:11], off
	s_waitcnt vmcnt(1)
	v_mul_f64 v[10:11], v[2:3], v[2:3]
	s_waitcnt vmcnt(0)
	v_mul_f64 v[12:13], v[8:9], v[2:3]
	v_mul_f64 v[2:3], v[6:7], v[2:3]
	v_fma_f64 v[10:11], v[0:1], v[0:1], v[10:11]
	v_fma_f64 v[6:7], v[6:7], v[0:1], v[12:13]
	v_fma_f64 v[2:3], v[8:9], v[0:1], -v[2:3]
	v_div_scale_f64 v[0:1], s[0:1], v[10:11], v[10:11], v[6:7]
	v_div_scale_f64 v[8:9], s[0:1], v[10:11], v[10:11], v[2:3]
	v_rcp_f64_e32 v[12:13], v[0:1]
	v_rcp_f64_e32 v[14:15], v[8:9]
	v_fma_f64 v[16:17], -v[0:1], v[12:13], 1.0
	v_fma_f64 v[18:19], -v[8:9], v[14:15], 1.0
	v_fma_f64 v[12:13], v[12:13], v[16:17], v[12:13]
	v_fma_f64 v[14:15], v[14:15], v[18:19], v[14:15]
	v_div_scale_f64 v[18:19], vcc, v[6:7], v[10:11], v[6:7]
	v_fma_f64 v[16:17], -v[0:1], v[12:13], 1.0
	v_fma_f64 v[12:13], v[12:13], v[16:17], v[12:13]
	v_fma_f64 v[16:17], -v[8:9], v[14:15], 1.0
	v_fma_f64 v[14:15], v[14:15], v[16:17], v[14:15]
	v_mul_f64 v[16:17], v[18:19], v[12:13]
	v_fma_f64 v[0:1], -v[0:1], v[16:17], v[18:19]
	v_div_scale_f64 v[18:19], s[0:1], v[2:3], v[10:11], v[2:3]
	v_div_fmas_f64 v[0:1], v[0:1], v[12:13], v[16:17]
	s_mov_b64 vcc, s[0:1]
	s_mov_b64 s[0:1], -1
	v_mul_f64 v[20:21], v[18:19], v[14:15]
	v_div_fixup_f64 v[0:1], v[0:1], v[10:11], v[6:7]
	v_fma_f64 v[8:9], -v[8:9], v[20:21], v[18:19]
	v_div_fmas_f64 v[8:9], v[8:9], v[14:15], v[20:21]
	v_div_fixup_f64 v[2:3], v[8:9], v[10:11], v[2:3]
.LBB3_9:
	s_branch .LBB3_11
.LBB3_10:
	v_ashrrev_i32_e32 v5, 31, v4
	v_lshlrev_b64 v[6:7], 4, v[4:5]
	v_mov_b32_e32 v1, s9
	v_add_co_u32_e32 v0, vcc, s8, v6
	v_addc_co_u32_e32 v1, vcc, v1, v7, vcc
	v_mov_b32_e32 v8, s11
	v_add_co_u32_e32 v6, vcc, s10, v6
	v_addc_co_u32_e32 v7, vcc, v8, v7, vcc
	global_load_dwordx4 v[0:3], v[0:1], off
	s_mov_b64 s[0:1], -1
	global_load_dwordx4 v[6:9], v[6:7], off
	s_waitcnt vmcnt(0)
	v_mul_f64 v[10:11], v[2:3], v[8:9]
	v_mul_f64 v[8:9], v[0:1], v[8:9]
	v_fma_f64 v[0:1], v[0:1], v[6:7], -v[10:11]
	v_fma_f64 v[2:3], v[2:3], v[6:7], v[8:9]
.LBB3_11:
	s_branch .LBB3_17
.LBB3_12:
	s_cmp_gt_i32 s7, 0
	s_cbranch_scc0 .LBB3_14
; %bb.13:
	v_ashrrev_i32_e32 v5, 31, v4
	v_lshlrev_b64 v[6:7], 4, v[4:5]
	v_mov_b32_e32 v1, s9
	v_add_co_u32_e32 v0, vcc, s8, v6
	v_addc_co_u32_e32 v1, vcc, v1, v7, vcc
	v_mov_b32_e32 v8, s11
	v_add_co_u32_e32 v6, vcc, s10, v6
	v_addc_co_u32_e32 v7, vcc, v8, v7, vcc
	global_load_dwordx4 v[0:3], v[0:1], off
	s_nop 0
	global_load_dwordx4 v[6:9], v[6:7], off
	s_mov_b64 s[0:1], -1
	s_waitcnt vmcnt(0)
	v_add_f64 v[0:1], v[0:1], -v[6:7]
	v_add_f64 v[2:3], v[2:3], -v[8:9]
	s_cbranch_execz .LBB3_15
	s_branch .LBB3_17
.LBB3_14:
                                        ; implicit-def: $vgpr2_vgpr3
.LBB3_15:
	s_cmp_eq_u32 s7, 0
	s_cbranch_scc1 .LBB3_20
; %bb.16:
                                        ; implicit-def: $vgpr2_vgpr3
                                        ; implicit-def: $vgpr4_vgpr5
.LBB3_17:
	s_and_b64 vcc, exec, s[0:1]
	s_cbranch_vccz .LBB3_19
.LBB3_18:
	s_load_dwordx2 s[0:1], s[4:5], 0x10
	v_lshlrev_b64 v[4:5], 4, v[4:5]
	s_waitcnt lgkmcnt(0)
	v_mov_b32_e32 v6, s1
	v_add_co_u32_e32 v4, vcc, s0, v4
	v_addc_co_u32_e32 v5, vcc, v6, v5, vcc
	global_store_dwordx4 v[4:5], v[0:3], off
.LBB3_19:
	s_endpgm
.LBB3_20:
	v_ashrrev_i32_e32 v5, 31, v4
	v_lshlrev_b64 v[6:7], 4, v[4:5]
	v_mov_b32_e32 v1, s9
	v_add_co_u32_e32 v0, vcc, s8, v6
	v_addc_co_u32_e32 v1, vcc, v1, v7, vcc
	v_mov_b32_e32 v8, s11
	v_add_co_u32_e32 v6, vcc, s10, v6
	v_addc_co_u32_e32 v7, vcc, v8, v7, vcc
	global_load_dwordx4 v[0:3], v[0:1], off
	s_nop 0
	global_load_dwordx4 v[6:9], v[6:7], off
	s_waitcnt vmcnt(0)
	v_add_f64 v[0:1], v[0:1], v[6:7]
	v_add_f64 v[2:3], v[2:3], v[8:9]
	s_cbranch_execnz .LBB3_18
	s_branch .LBB3_19
.LBB3_21:
                                        ; implicit-def: $vgpr2_vgpr3
	s_mov_b64 s[0:1], 0
	s_and_b64 vcc, exec, s[2:3]
	s_cbranch_vccnz .LBB3_8
	s_branch .LBB3_9
	.section	.rodata,"a",@progbits
	.p2align	6, 0x0
	.amdhsa_kernel _ZL20testComplexMathFunc1P15HIP_vector_typeIdLj2EES1_S1_15ComplexFuncType
		.amdhsa_group_segment_fixed_size 0
		.amdhsa_private_segment_fixed_size 0
		.amdhsa_kernarg_size 288
		.amdhsa_user_sgpr_count 6
		.amdhsa_user_sgpr_private_segment_buffer 1
		.amdhsa_user_sgpr_dispatch_ptr 0
		.amdhsa_user_sgpr_queue_ptr 0
		.amdhsa_user_sgpr_kernarg_segment_ptr 1
		.amdhsa_user_sgpr_dispatch_id 0
		.amdhsa_user_sgpr_flat_scratch_init 0
		.amdhsa_user_sgpr_private_segment_size 0
		.amdhsa_uses_dynamic_stack 0
		.amdhsa_system_sgpr_private_segment_wavefront_offset 0
		.amdhsa_system_sgpr_workgroup_id_x 1
		.amdhsa_system_sgpr_workgroup_id_y 0
		.amdhsa_system_sgpr_workgroup_id_z 0
		.amdhsa_system_sgpr_workgroup_info 0
		.amdhsa_system_vgpr_workitem_id 0
		.amdhsa_next_free_vgpr 22
		.amdhsa_next_free_sgpr 12
		.amdhsa_reserve_vcc 1
		.amdhsa_reserve_flat_scratch 0
		.amdhsa_float_round_mode_32 0
		.amdhsa_float_round_mode_16_64 0
		.amdhsa_float_denorm_mode_32 3
		.amdhsa_float_denorm_mode_16_64 3
		.amdhsa_dx10_clamp 1
		.amdhsa_ieee_mode 1
		.amdhsa_fp16_overflow 0
		.amdhsa_exception_fp_ieee_invalid_op 0
		.amdhsa_exception_fp_denorm_src 0
		.amdhsa_exception_fp_ieee_div_zero 0
		.amdhsa_exception_fp_ieee_overflow 0
		.amdhsa_exception_fp_ieee_underflow 0
		.amdhsa_exception_fp_ieee_inexact 0
		.amdhsa_exception_int_div_zero 0
	.end_amdhsa_kernel
	.section	.text._ZL20testComplexMathFunc1P15HIP_vector_typeIdLj2EES1_S1_15ComplexFuncType,"axG",@progbits,_ZL20testComplexMathFunc1P15HIP_vector_typeIdLj2EES1_S1_15ComplexFuncType,comdat
.Lfunc_end3:
	.size	_ZL20testComplexMathFunc1P15HIP_vector_typeIdLj2EES1_S1_15ComplexFuncType, .Lfunc_end3-_ZL20testComplexMathFunc1P15HIP_vector_typeIdLj2EES1_S1_15ComplexFuncType
                                        ; -- End function
	.set _ZL20testComplexMathFunc1P15HIP_vector_typeIdLj2EES1_S1_15ComplexFuncType.num_vgpr, 22
	.set _ZL20testComplexMathFunc1P15HIP_vector_typeIdLj2EES1_S1_15ComplexFuncType.num_agpr, 0
	.set _ZL20testComplexMathFunc1P15HIP_vector_typeIdLj2EES1_S1_15ComplexFuncType.numbered_sgpr, 12
	.set _ZL20testComplexMathFunc1P15HIP_vector_typeIdLj2EES1_S1_15ComplexFuncType.num_named_barrier, 0
	.set _ZL20testComplexMathFunc1P15HIP_vector_typeIdLj2EES1_S1_15ComplexFuncType.private_seg_size, 0
	.set _ZL20testComplexMathFunc1P15HIP_vector_typeIdLj2EES1_S1_15ComplexFuncType.uses_vcc, 1
	.set _ZL20testComplexMathFunc1P15HIP_vector_typeIdLj2EES1_S1_15ComplexFuncType.uses_flat_scratch, 0
	.set _ZL20testComplexMathFunc1P15HIP_vector_typeIdLj2EES1_S1_15ComplexFuncType.has_dyn_sized_stack, 0
	.set _ZL20testComplexMathFunc1P15HIP_vector_typeIdLj2EES1_S1_15ComplexFuncType.has_recursion, 0
	.set _ZL20testComplexMathFunc1P15HIP_vector_typeIdLj2EES1_S1_15ComplexFuncType.has_indirect_call, 0
	.section	.AMDGPU.csdata,"",@progbits
; Kernel info:
; codeLenInByte = 812
; TotalNumSgprs: 16
; NumVgprs: 22
; ScratchSize: 0
; MemoryBound: 1
; FloatMode: 240
; IeeeMode: 1
; LDSByteSize: 0 bytes/workgroup (compile time only)
; SGPRBlocks: 1
; VGPRBlocks: 5
; NumSGPRsForWavesPerEU: 16
; NumVGPRsForWavesPerEU: 22
; Occupancy: 10
; WaveLimiterHint : 0
; COMPUTE_PGM_RSRC2:SCRATCH_EN: 0
; COMPUTE_PGM_RSRC2:USER_SGPR: 6
; COMPUTE_PGM_RSRC2:TRAP_HANDLER: 0
; COMPUTE_PGM_RSRC2:TGID_X_EN: 1
; COMPUTE_PGM_RSRC2:TGID_Y_EN: 0
; COMPUTE_PGM_RSRC2:TGID_Z_EN: 0
; COMPUTE_PGM_RSRC2:TIDIG_COMP_CNT: 0
	.section	.text._ZL20testComplexMathFunc2P15HIP_vector_typeIfLj2EEPf15ComplexFuncType,"axG",@progbits,_ZL20testComplexMathFunc2P15HIP_vector_typeIfLj2EEPf15ComplexFuncType,comdat
	.globl	_ZL20testComplexMathFunc2P15HIP_vector_typeIfLj2EEPf15ComplexFuncType ; -- Begin function _ZL20testComplexMathFunc2P15HIP_vector_typeIfLj2EEPf15ComplexFuncType
	.p2align	8
	.type	_ZL20testComplexMathFunc2P15HIP_vector_typeIfLj2EEPf15ComplexFuncType,@function
_ZL20testComplexMathFunc2P15HIP_vector_typeIfLj2EEPf15ComplexFuncType: ; @_ZL20testComplexMathFunc2P15HIP_vector_typeIfLj2EEPf15ComplexFuncType
; %bb.0:
	s_load_dword s0, s[4:5], 0x24
	s_load_dword s7, s[4:5], 0x10
	s_load_dwordx4 s[8:11], s[4:5], 0x0
	s_waitcnt lgkmcnt(0)
	s_and_b32 s0, s0, 0xffff
	s_mul_i32 s6, s6, s0
	s_cmp_lt_i32 s7, 7
	v_add_u32_e32 v0, s6, v0
	s_cbranch_scc1 .LBB4_4
; %bb.1:
	s_cmp_gt_i32 s7, 7
	s_cbranch_scc0 .LBB4_5
; %bb.2:
	s_cmp_eq_u32 s7, 8
	s_mov_b64 s[2:3], 0
	s_cbranch_scc0 .LBB4_7
; %bb.3:
	v_ashrrev_i32_e32 v1, 31, v0
	v_lshlrev_b64 v[2:3], 3, v[0:1]
	v_mov_b32_e32 v4, s9
	v_add_co_u32_e32 v2, vcc, s8, v2
	v_addc_co_u32_e32 v3, vcc, v4, v3, vcc
	global_load_dwordx2 v[2:3], v[2:3], off
	s_mov_b32 s0, 0xf800000
	v_mov_b32_e32 v4, 0x260
	s_waitcnt vmcnt(0)
	v_mul_f32_e32 v3, v3, v3
	v_fmac_f32_e32 v3, v2, v2
	v_mul_f32_e32 v2, 0x4f800000, v3
	v_cmp_gt_f32_e32 vcc, s0, v3
	v_cndmask_b32_e32 v2, v3, v2, vcc
	v_sqrt_f32_e32 v3, v2
	v_add_u32_e32 v5, -1, v3
	v_add_u32_e32 v6, 1, v3
	v_fma_f32 v7, -v5, v3, v2
	v_fma_f32 v8, -v6, v3, v2
	v_cmp_ge_f32_e64 s[0:1], 0, v7
	v_cndmask_b32_e64 v3, v3, v5, s[0:1]
	v_cmp_lt_f32_e64 s[0:1], 0, v8
	v_cndmask_b32_e64 v3, v3, v6, s[0:1]
	v_mul_f32_e32 v5, 0x37800000, v3
	v_cndmask_b32_e32 v3, v3, v5, vcc
	v_cmp_class_f32_e32 vcc, v2, v4
	v_cndmask_b32_e32 v2, v3, v2, vcc
	s_mov_b64 s[0:1], -1
	s_and_b64 vcc, exec, s[2:3]
	s_cbranch_vccnz .LBB4_6
	s_branch .LBB4_8
.LBB4_4:
	s_mov_b64 s[0:1], 0
                                        ; implicit-def: $vgpr2
	s_cbranch_execnz .LBB4_9
	s_branch .LBB4_14
.LBB4_5:
	s_mov_b64 s[0:1], 0
                                        ; implicit-def: $vgpr2
	s_cbranch_execz .LBB4_8
.LBB4_6:
	v_ashrrev_i32_e32 v1, 31, v0
	v_lshlrev_b64 v[2:3], 3, v[0:1]
	v_mov_b32_e32 v4, s9
	v_add_co_u32_e32 v2, vcc, s8, v2
	v_addc_co_u32_e32 v3, vcc, v4, v3, vcc
	global_load_dwordx2 v[3:4], v[2:3], off
	s_mov_b64 s[0:1], -1
	s_waitcnt vmcnt(0)
	v_mul_f32_e32 v2, v4, v4
	v_fmac_f32_e32 v2, v3, v3
	s_branch .LBB4_14
.LBB4_7:
	s_mov_b64 s[0:1], 0
                                        ; implicit-def: $vgpr2
	s_and_b64 vcc, exec, s[2:3]
	s_cbranch_vccnz .LBB4_6
.LBB4_8:
	s_branch .LBB4_14
.LBB4_9:
	s_cmp_gt_i32 s7, 5
	s_cbranch_scc0 .LBB4_11
; %bb.10:
	v_ashrrev_i32_e32 v1, 31, v0
	v_lshlrev_b64 v[2:3], 3, v[0:1]
	v_mov_b32_e32 v4, s9
	v_add_co_u32_e32 v2, vcc, s8, v2
	v_addc_co_u32_e32 v3, vcc, v4, v3, vcc
	global_load_dword v2, v[2:3], off offset:4
	s_mov_b64 s[0:1], -1
	s_cbranch_execz .LBB4_12
	s_branch .LBB4_14
.LBB4_11:
                                        ; implicit-def: $vgpr2
.LBB4_12:
	s_cmp_eq_u32 s7, 5
	s_cbranch_scc0 .LBB4_17
; %bb.13:
	v_ashrrev_i32_e32 v1, 31, v0
	s_waitcnt vmcnt(0)
	v_lshlrev_b64 v[2:3], 3, v[0:1]
	v_mov_b32_e32 v4, s9
	v_add_co_u32_e32 v2, vcc, s8, v2
	v_addc_co_u32_e32 v3, vcc, v4, v3, vcc
	global_load_dword v2, v[2:3], off
	s_mov_b64 s[0:1], -1
.LBB4_14:
	s_and_b64 vcc, exec, s[0:1]
	s_cbranch_vccz .LBB4_16
.LBB4_15:
	v_lshlrev_b64 v[0:1], 2, v[0:1]
	v_mov_b32_e32 v3, s11
	v_add_co_u32_e32 v0, vcc, s10, v0
	v_addc_co_u32_e32 v1, vcc, v3, v1, vcc
	s_waitcnt vmcnt(0)
	global_store_dword v[0:1], v2, off
.LBB4_16:
	s_endpgm
.LBB4_17:
                                        ; implicit-def: $vgpr2
                                        ; implicit-def: $vgpr0_vgpr1
	s_and_b64 vcc, exec, s[0:1]
	s_cbranch_vccnz .LBB4_15
	s_branch .LBB4_16
	.section	.rodata,"a",@progbits
	.p2align	6, 0x0
	.amdhsa_kernel _ZL20testComplexMathFunc2P15HIP_vector_typeIfLj2EEPf15ComplexFuncType
		.amdhsa_group_segment_fixed_size 0
		.amdhsa_private_segment_fixed_size 0
		.amdhsa_kernarg_size 280
		.amdhsa_user_sgpr_count 6
		.amdhsa_user_sgpr_private_segment_buffer 1
		.amdhsa_user_sgpr_dispatch_ptr 0
		.amdhsa_user_sgpr_queue_ptr 0
		.amdhsa_user_sgpr_kernarg_segment_ptr 1
		.amdhsa_user_sgpr_dispatch_id 0
		.amdhsa_user_sgpr_flat_scratch_init 0
		.amdhsa_user_sgpr_private_segment_size 0
		.amdhsa_uses_dynamic_stack 0
		.amdhsa_system_sgpr_private_segment_wavefront_offset 0
		.amdhsa_system_sgpr_workgroup_id_x 1
		.amdhsa_system_sgpr_workgroup_id_y 0
		.amdhsa_system_sgpr_workgroup_id_z 0
		.amdhsa_system_sgpr_workgroup_info 0
		.amdhsa_system_vgpr_workitem_id 0
		.amdhsa_next_free_vgpr 9
		.amdhsa_next_free_sgpr 12
		.amdhsa_reserve_vcc 1
		.amdhsa_reserve_flat_scratch 0
		.amdhsa_float_round_mode_32 0
		.amdhsa_float_round_mode_16_64 0
		.amdhsa_float_denorm_mode_32 3
		.amdhsa_float_denorm_mode_16_64 3
		.amdhsa_dx10_clamp 1
		.amdhsa_ieee_mode 1
		.amdhsa_fp16_overflow 0
		.amdhsa_exception_fp_ieee_invalid_op 0
		.amdhsa_exception_fp_denorm_src 0
		.amdhsa_exception_fp_ieee_div_zero 0
		.amdhsa_exception_fp_ieee_overflow 0
		.amdhsa_exception_fp_ieee_underflow 0
		.amdhsa_exception_fp_ieee_inexact 0
		.amdhsa_exception_int_div_zero 0
	.end_amdhsa_kernel
	.section	.text._ZL20testComplexMathFunc2P15HIP_vector_typeIfLj2EEPf15ComplexFuncType,"axG",@progbits,_ZL20testComplexMathFunc2P15HIP_vector_typeIfLj2EEPf15ComplexFuncType,comdat
.Lfunc_end4:
	.size	_ZL20testComplexMathFunc2P15HIP_vector_typeIfLj2EEPf15ComplexFuncType, .Lfunc_end4-_ZL20testComplexMathFunc2P15HIP_vector_typeIfLj2EEPf15ComplexFuncType
                                        ; -- End function
	.set _ZL20testComplexMathFunc2P15HIP_vector_typeIfLj2EEPf15ComplexFuncType.num_vgpr, 9
	.set _ZL20testComplexMathFunc2P15HIP_vector_typeIfLj2EEPf15ComplexFuncType.num_agpr, 0
	.set _ZL20testComplexMathFunc2P15HIP_vector_typeIfLj2EEPf15ComplexFuncType.numbered_sgpr, 12
	.set _ZL20testComplexMathFunc2P15HIP_vector_typeIfLj2EEPf15ComplexFuncType.num_named_barrier, 0
	.set _ZL20testComplexMathFunc2P15HIP_vector_typeIfLj2EEPf15ComplexFuncType.private_seg_size, 0
	.set _ZL20testComplexMathFunc2P15HIP_vector_typeIfLj2EEPf15ComplexFuncType.uses_vcc, 1
	.set _ZL20testComplexMathFunc2P15HIP_vector_typeIfLj2EEPf15ComplexFuncType.uses_flat_scratch, 0
	.set _ZL20testComplexMathFunc2P15HIP_vector_typeIfLj2EEPf15ComplexFuncType.has_dyn_sized_stack, 0
	.set _ZL20testComplexMathFunc2P15HIP_vector_typeIfLj2EEPf15ComplexFuncType.has_recursion, 0
	.set _ZL20testComplexMathFunc2P15HIP_vector_typeIfLj2EEPf15ComplexFuncType.has_indirect_call, 0
	.section	.AMDGPU.csdata,"",@progbits
; Kernel info:
; codeLenInByte = 488
; TotalNumSgprs: 16
; NumVgprs: 9
; ScratchSize: 0
; MemoryBound: 0
; FloatMode: 240
; IeeeMode: 1
; LDSByteSize: 0 bytes/workgroup (compile time only)
; SGPRBlocks: 1
; VGPRBlocks: 2
; NumSGPRsForWavesPerEU: 16
; NumVGPRsForWavesPerEU: 9
; Occupancy: 10
; WaveLimiterHint : 0
; COMPUTE_PGM_RSRC2:SCRATCH_EN: 0
; COMPUTE_PGM_RSRC2:USER_SGPR: 6
; COMPUTE_PGM_RSRC2:TRAP_HANDLER: 0
; COMPUTE_PGM_RSRC2:TGID_X_EN: 1
; COMPUTE_PGM_RSRC2:TGID_Y_EN: 0
; COMPUTE_PGM_RSRC2:TGID_Z_EN: 0
; COMPUTE_PGM_RSRC2:TIDIG_COMP_CNT: 0
	.section	.text._ZL20testComplexMathFunc2P15HIP_vector_typeIdLj2EEPd15ComplexFuncType,"axG",@progbits,_ZL20testComplexMathFunc2P15HIP_vector_typeIdLj2EEPd15ComplexFuncType,comdat
	.globl	_ZL20testComplexMathFunc2P15HIP_vector_typeIdLj2EEPd15ComplexFuncType ; -- Begin function _ZL20testComplexMathFunc2P15HIP_vector_typeIdLj2EEPd15ComplexFuncType
	.p2align	8
	.type	_ZL20testComplexMathFunc2P15HIP_vector_typeIdLj2EEPd15ComplexFuncType,@function
_ZL20testComplexMathFunc2P15HIP_vector_typeIdLj2EEPd15ComplexFuncType: ; @_ZL20testComplexMathFunc2P15HIP_vector_typeIdLj2EEPd15ComplexFuncType
; %bb.0:
	s_load_dword s7, s[4:5], 0x24
	s_load_dword s8, s[4:5], 0x10
	s_load_dwordx4 s[0:3], s[4:5], 0x0
	s_waitcnt lgkmcnt(0)
	s_and_b32 s4, s7, 0xffff
	s_mul_i32 s6, s6, s4
	s_cmp_lt_i32 s8, 7
	v_add_u32_e32 v0, s6, v0
	s_cbranch_scc1 .LBB5_4
; %bb.1:
	s_cmp_gt_i32 s8, 7
	s_cbranch_scc0 .LBB5_5
; %bb.2:
	s_cmp_eq_u32 s8, 8
	s_mov_b64 s[6:7], 0
	s_cbranch_scc0 .LBB5_7
; %bb.3:
	v_ashrrev_i32_e32 v1, 31, v0
	v_lshlrev_b64 v[2:3], 4, v[0:1]
	v_mov_b32_e32 v4, s1
	v_add_co_u32_e32 v2, vcc, s0, v2
	v_addc_co_u32_e32 v3, vcc, v4, v3, vcc
	global_load_dwordx4 v[2:5], v[2:3], off
	s_mov_b32 s4, 0
	s_brev_b32 s5, 8
	s_waitcnt vmcnt(0)
	v_mul_f64 v[4:5], v[4:5], v[4:5]
	v_fma_f64 v[2:3], v[2:3], v[2:3], v[4:5]
	v_mov_b32_e32 v4, 0x100
	v_cmp_gt_f64_e32 vcc, s[4:5], v[2:3]
	s_mov_b64 s[4:5], -1
	v_cndmask_b32_e32 v4, 0, v4, vcc
	v_ldexp_f64 v[2:3], v[2:3], v4
	v_rsq_f64_e32 v[4:5], v[2:3]
	v_mul_f64 v[6:7], v[2:3], v[4:5]
	v_mul_f64 v[4:5], v[4:5], 0.5
	v_fma_f64 v[8:9], -v[4:5], v[6:7], 0.5
	v_fma_f64 v[6:7], v[6:7], v[8:9], v[6:7]
	v_fma_f64 v[4:5], v[4:5], v[8:9], v[4:5]
	v_fma_f64 v[8:9], -v[6:7], v[6:7], v[2:3]
	v_fma_f64 v[6:7], v[8:9], v[4:5], v[6:7]
	v_fma_f64 v[8:9], -v[6:7], v[6:7], v[2:3]
	v_fma_f64 v[4:5], v[8:9], v[4:5], v[6:7]
	v_mov_b32_e32 v6, 0xffffff80
	v_mov_b32_e32 v7, 0x260
	v_cndmask_b32_e32 v6, 0, v6, vcc
	v_cmp_class_f64_e32 vcc, v[2:3], v7
	v_ldexp_f64 v[4:5], v[4:5], v6
	v_cndmask_b32_e32 v3, v5, v3, vcc
	v_cndmask_b32_e32 v2, v4, v2, vcc
	s_and_b64 vcc, exec, s[6:7]
	s_cbranch_vccnz .LBB5_6
	s_branch .LBB5_8
.LBB5_4:
	s_mov_b64 s[4:5], 0
                                        ; implicit-def: $vgpr2_vgpr3
	s_cbranch_execnz .LBB5_9
	s_branch .LBB5_14
.LBB5_5:
	s_mov_b64 s[4:5], 0
                                        ; implicit-def: $vgpr2_vgpr3
	s_cbranch_execz .LBB5_8
.LBB5_6:
	v_ashrrev_i32_e32 v1, 31, v0
	v_lshlrev_b64 v[2:3], 4, v[0:1]
	v_mov_b32_e32 v4, s1
	v_add_co_u32_e32 v2, vcc, s0, v2
	v_addc_co_u32_e32 v3, vcc, v4, v3, vcc
	global_load_dwordx4 v[2:5], v[2:3], off
	s_mov_b64 s[4:5], -1
	s_waitcnt vmcnt(0)
	v_mul_f64 v[4:5], v[4:5], v[4:5]
	v_fma_f64 v[2:3], v[2:3], v[2:3], v[4:5]
	s_branch .LBB5_14
.LBB5_7:
	s_mov_b64 s[4:5], 0
                                        ; implicit-def: $vgpr2_vgpr3
	s_and_b64 vcc, exec, s[6:7]
	s_cbranch_vccnz .LBB5_6
.LBB5_8:
	s_branch .LBB5_14
.LBB5_9:
	s_cmp_gt_i32 s8, 5
	s_cbranch_scc0 .LBB5_11
; %bb.10:
	v_ashrrev_i32_e32 v1, 31, v0
	v_lshlrev_b64 v[2:3], 4, v[0:1]
	v_mov_b32_e32 v4, s1
	v_add_co_u32_e32 v2, vcc, s0, v2
	v_addc_co_u32_e32 v3, vcc, v4, v3, vcc
	global_load_dwordx2 v[2:3], v[2:3], off offset:8
	s_mov_b64 s[4:5], -1
	s_cbranch_execz .LBB5_12
	s_branch .LBB5_14
.LBB5_11:
                                        ; implicit-def: $vgpr2_vgpr3
.LBB5_12:
	s_cmp_eq_u32 s8, 5
	s_cbranch_scc0 .LBB5_17
; %bb.13:
	v_ashrrev_i32_e32 v1, 31, v0
	s_waitcnt vmcnt(0)
	v_lshlrev_b64 v[2:3], 4, v[0:1]
	v_mov_b32_e32 v4, s1
	v_add_co_u32_e32 v2, vcc, s0, v2
	v_addc_co_u32_e32 v3, vcc, v4, v3, vcc
	global_load_dwordx2 v[2:3], v[2:3], off
	s_mov_b64 s[4:5], -1
.LBB5_14:
	s_and_b64 vcc, exec, s[4:5]
	s_cbranch_vccz .LBB5_16
.LBB5_15:
	v_lshlrev_b64 v[0:1], 3, v[0:1]
	v_mov_b32_e32 v4, s3
	v_add_co_u32_e32 v0, vcc, s2, v0
	v_addc_co_u32_e32 v1, vcc, v4, v1, vcc
	s_waitcnt vmcnt(0)
	global_store_dwordx2 v[0:1], v[2:3], off
.LBB5_16:
	s_endpgm
.LBB5_17:
                                        ; implicit-def: $vgpr2_vgpr3
                                        ; implicit-def: $vgpr0_vgpr1
	s_and_b64 vcc, exec, s[4:5]
	s_cbranch_vccnz .LBB5_15
	s_branch .LBB5_16
	.section	.rodata,"a",@progbits
	.p2align	6, 0x0
	.amdhsa_kernel _ZL20testComplexMathFunc2P15HIP_vector_typeIdLj2EEPd15ComplexFuncType
		.amdhsa_group_segment_fixed_size 0
		.amdhsa_private_segment_fixed_size 0
		.amdhsa_kernarg_size 280
		.amdhsa_user_sgpr_count 6
		.amdhsa_user_sgpr_private_segment_buffer 1
		.amdhsa_user_sgpr_dispatch_ptr 0
		.amdhsa_user_sgpr_queue_ptr 0
		.amdhsa_user_sgpr_kernarg_segment_ptr 1
		.amdhsa_user_sgpr_dispatch_id 0
		.amdhsa_user_sgpr_flat_scratch_init 0
		.amdhsa_user_sgpr_private_segment_size 0
		.amdhsa_uses_dynamic_stack 0
		.amdhsa_system_sgpr_private_segment_wavefront_offset 0
		.amdhsa_system_sgpr_workgroup_id_x 1
		.amdhsa_system_sgpr_workgroup_id_y 0
		.amdhsa_system_sgpr_workgroup_id_z 0
		.amdhsa_system_sgpr_workgroup_info 0
		.amdhsa_system_vgpr_workitem_id 0
		.amdhsa_next_free_vgpr 10
		.amdhsa_next_free_sgpr 9
		.amdhsa_reserve_vcc 1
		.amdhsa_reserve_flat_scratch 0
		.amdhsa_float_round_mode_32 0
		.amdhsa_float_round_mode_16_64 0
		.amdhsa_float_denorm_mode_32 3
		.amdhsa_float_denorm_mode_16_64 3
		.amdhsa_dx10_clamp 1
		.amdhsa_ieee_mode 1
		.amdhsa_fp16_overflow 0
		.amdhsa_exception_fp_ieee_invalid_op 0
		.amdhsa_exception_fp_denorm_src 0
		.amdhsa_exception_fp_ieee_div_zero 0
		.amdhsa_exception_fp_ieee_overflow 0
		.amdhsa_exception_fp_ieee_underflow 0
		.amdhsa_exception_fp_ieee_inexact 0
		.amdhsa_exception_int_div_zero 0
	.end_amdhsa_kernel
	.section	.text._ZL20testComplexMathFunc2P15HIP_vector_typeIdLj2EEPd15ComplexFuncType,"axG",@progbits,_ZL20testComplexMathFunc2P15HIP_vector_typeIdLj2EEPd15ComplexFuncType,comdat
.Lfunc_end5:
	.size	_ZL20testComplexMathFunc2P15HIP_vector_typeIdLj2EEPd15ComplexFuncType, .Lfunc_end5-_ZL20testComplexMathFunc2P15HIP_vector_typeIdLj2EEPd15ComplexFuncType
                                        ; -- End function
	.set _ZL20testComplexMathFunc2P15HIP_vector_typeIdLj2EEPd15ComplexFuncType.num_vgpr, 10
	.set _ZL20testComplexMathFunc2P15HIP_vector_typeIdLj2EEPd15ComplexFuncType.num_agpr, 0
	.set _ZL20testComplexMathFunc2P15HIP_vector_typeIdLj2EEPd15ComplexFuncType.numbered_sgpr, 9
	.set _ZL20testComplexMathFunc2P15HIP_vector_typeIdLj2EEPd15ComplexFuncType.num_named_barrier, 0
	.set _ZL20testComplexMathFunc2P15HIP_vector_typeIdLj2EEPd15ComplexFuncType.private_seg_size, 0
	.set _ZL20testComplexMathFunc2P15HIP_vector_typeIdLj2EEPd15ComplexFuncType.uses_vcc, 1
	.set _ZL20testComplexMathFunc2P15HIP_vector_typeIdLj2EEPd15ComplexFuncType.uses_flat_scratch, 0
	.set _ZL20testComplexMathFunc2P15HIP_vector_typeIdLj2EEPd15ComplexFuncType.has_dyn_sized_stack, 0
	.set _ZL20testComplexMathFunc2P15HIP_vector_typeIdLj2EEPd15ComplexFuncType.has_recursion, 0
	.set _ZL20testComplexMathFunc2P15HIP_vector_typeIdLj2EEPd15ComplexFuncType.has_indirect_call, 0
	.section	.AMDGPU.csdata,"",@progbits
; Kernel info:
; codeLenInByte = 540
; TotalNumSgprs: 13
; NumVgprs: 10
; ScratchSize: 0
; MemoryBound: 0
; FloatMode: 240
; IeeeMode: 1
; LDSByteSize: 0 bytes/workgroup (compile time only)
; SGPRBlocks: 1
; VGPRBlocks: 2
; NumSGPRsForWavesPerEU: 13
; NumVGPRsForWavesPerEU: 10
; Occupancy: 10
; WaveLimiterHint : 0
; COMPUTE_PGM_RSRC2:SCRATCH_EN: 0
; COMPUTE_PGM_RSRC2:USER_SGPR: 6
; COMPUTE_PGM_RSRC2:TRAP_HANDLER: 0
; COMPUTE_PGM_RSRC2:TGID_X_EN: 1
; COMPUTE_PGM_RSRC2:TGID_Y_EN: 0
; COMPUTE_PGM_RSRC2:TGID_Z_EN: 0
; COMPUTE_PGM_RSRC2:TIDIG_COMP_CNT: 0
	.section	.AMDGPU.gpr_maximums,"",@progbits
	.set amdgpu.max_num_vgpr, 0
	.set amdgpu.max_num_agpr, 0
	.set amdgpu.max_num_sgpr, 0
	.section	.AMDGPU.csdata,"",@progbits
	.type	__hip_cuid_d01a4e239fc3f317,@object ; @__hip_cuid_d01a4e239fc3f317
	.section	.bss,"aw",@nobits
	.globl	__hip_cuid_d01a4e239fc3f317
__hip_cuid_d01a4e239fc3f317:
	.byte	0                               ; 0x0
	.size	__hip_cuid_d01a4e239fc3f317, 1

	.ident	"AMD clang version 22.0.0git (https://github.com/RadeonOpenCompute/llvm-project roc-7.2.4 26084 f58b06dce1f9c15707c5f808fd002e18c2accf7e)"
	.section	".note.GNU-stack","",@progbits
	.addrsig
	.addrsig_sym __hip_cuid_d01a4e239fc3f317
	.amdgpu_metadata
---
amdhsa.kernels:
  - .args:
      - .address_space:  global
        .offset:         0
        .size:           8
        .value_kind:     global_buffer
      - .address_space:  global
        .offset:         8
        .size:           8
        .value_kind:     global_buffer
      - .address_space:  global
        .offset:         16
        .size:           8
        .value_kind:     global_buffer
      - .offset:         24
        .size:           4
        .value_kind:     hidden_block_count_x
      - .offset:         28
        .size:           4
        .value_kind:     hidden_block_count_y
      - .offset:         32
        .size:           4
        .value_kind:     hidden_block_count_z
      - .offset:         36
        .size:           2
        .value_kind:     hidden_group_size_x
      - .offset:         38
        .size:           2
        .value_kind:     hidden_group_size_y
      - .offset:         40
        .size:           2
        .value_kind:     hidden_group_size_z
      - .offset:         42
        .size:           2
        .value_kind:     hidden_remainder_x
      - .offset:         44
        .size:           2
        .value_kind:     hidden_remainder_y
      - .offset:         46
        .size:           2
        .value_kind:     hidden_remainder_z
      - .offset:         64
        .size:           8
        .value_kind:     hidden_global_offset_x
      - .offset:         72
        .size:           8
        .value_kind:     hidden_global_offset_y
      - .offset:         80
        .size:           8
        .value_kind:     hidden_global_offset_z
      - .offset:         88
        .size:           2
        .value_kind:     hidden_grid_dims
    .group_segment_fixed_size: 0
    .kernarg_segment_align: 8
    .kernarg_segment_size: 280
    .language:       OpenCL C
    .language_version:
      - 2
      - 0
    .max_flat_workgroup_size: 1024
    .name:           _ZL19testMakeComplexFuncPfS_P15HIP_vector_typeIfLj2EE
    .private_segment_fixed_size: 0
    .sgpr_count:     14
    .sgpr_spill_count: 0
    .symbol:         _ZL19testMakeComplexFuncPfS_P15HIP_vector_typeIfLj2EE.kd
    .uniform_work_group_size: 1
    .uses_dynamic_stack: false
    .vgpr_count:     6
    .vgpr_spill_count: 0
    .wavefront_size: 64
  - .args:
      - .address_space:  global
        .offset:         0
        .size:           8
        .value_kind:     global_buffer
      - .address_space:  global
        .offset:         8
        .size:           8
        .value_kind:     global_buffer
      - .address_space:  global
        .offset:         16
        .size:           8
        .value_kind:     global_buffer
      - .offset:         24
        .size:           4
        .value_kind:     hidden_block_count_x
      - .offset:         28
        .size:           4
        .value_kind:     hidden_block_count_y
      - .offset:         32
        .size:           4
        .value_kind:     hidden_block_count_z
      - .offset:         36
        .size:           2
        .value_kind:     hidden_group_size_x
      - .offset:         38
        .size:           2
        .value_kind:     hidden_group_size_y
      - .offset:         40
        .size:           2
        .value_kind:     hidden_group_size_z
      - .offset:         42
        .size:           2
        .value_kind:     hidden_remainder_x
      - .offset:         44
        .size:           2
        .value_kind:     hidden_remainder_y
      - .offset:         46
        .size:           2
        .value_kind:     hidden_remainder_z
      - .offset:         64
        .size:           8
        .value_kind:     hidden_global_offset_x
      - .offset:         72
        .size:           8
        .value_kind:     hidden_global_offset_y
      - .offset:         80
        .size:           8
        .value_kind:     hidden_global_offset_z
      - .offset:         88
        .size:           2
        .value_kind:     hidden_grid_dims
    .group_segment_fixed_size: 0
    .kernarg_segment_align: 8
    .kernarg_segment_size: 280
    .language:       OpenCL C
    .language_version:
      - 2
      - 0
    .max_flat_workgroup_size: 1024
    .name:           _ZL19testMakeComplexFuncPdS_P15HIP_vector_typeIdLj2EE
    .private_segment_fixed_size: 0
    .sgpr_count:     14
    .sgpr_spill_count: 0
    .symbol:         _ZL19testMakeComplexFuncPdS_P15HIP_vector_typeIdLj2EE.kd
    .uniform_work_group_size: 1
    .uses_dynamic_stack: false
    .vgpr_count:     7
    .vgpr_spill_count: 0
    .wavefront_size: 64
  - .args:
      - .address_space:  global
        .offset:         0
        .size:           8
        .value_kind:     global_buffer
      - .address_space:  global
        .offset:         8
        .size:           8
        .value_kind:     global_buffer
      - .address_space:  global
        .offset:         16
        .size:           8
        .value_kind:     global_buffer
      - .offset:         24
        .size:           4
        .value_kind:     by_value
      - .offset:         32
        .size:           4
        .value_kind:     hidden_block_count_x
      - .offset:         36
        .size:           4
        .value_kind:     hidden_block_count_y
      - .offset:         40
        .size:           4
        .value_kind:     hidden_block_count_z
      - .offset:         44
        .size:           2
        .value_kind:     hidden_group_size_x
      - .offset:         46
        .size:           2
        .value_kind:     hidden_group_size_y
      - .offset:         48
        .size:           2
        .value_kind:     hidden_group_size_z
      - .offset:         50
        .size:           2
        .value_kind:     hidden_remainder_x
      - .offset:         52
        .size:           2
        .value_kind:     hidden_remainder_y
      - .offset:         54
        .size:           2
        .value_kind:     hidden_remainder_z
      - .offset:         72
        .size:           8
        .value_kind:     hidden_global_offset_x
      - .offset:         80
        .size:           8
        .value_kind:     hidden_global_offset_y
      - .offset:         88
        .size:           8
        .value_kind:     hidden_global_offset_z
      - .offset:         96
        .size:           2
        .value_kind:     hidden_grid_dims
    .group_segment_fixed_size: 0
    .kernarg_segment_align: 8
    .kernarg_segment_size: 288
    .language:       OpenCL C
    .language_version:
      - 2
      - 0
    .max_flat_workgroup_size: 1024
    .name:           _ZL20testComplexMathFunc1P15HIP_vector_typeIfLj2EES1_S1_15ComplexFuncType
    .private_segment_fixed_size: 0
    .sgpr_count:     16
    .sgpr_spill_count: 0
    .symbol:         _ZL20testComplexMathFunc1P15HIP_vector_typeIfLj2EES1_S1_15ComplexFuncType.kd
    .uniform_work_group_size: 1
    .uses_dynamic_stack: false
    .vgpr_count:     16
    .vgpr_spill_count: 0
    .wavefront_size: 64
  - .args:
      - .address_space:  global
        .offset:         0
        .size:           8
        .value_kind:     global_buffer
      - .address_space:  global
        .offset:         8
        .size:           8
        .value_kind:     global_buffer
      - .address_space:  global
        .offset:         16
        .size:           8
        .value_kind:     global_buffer
      - .offset:         24
        .size:           4
        .value_kind:     by_value
      - .offset:         32
        .size:           4
        .value_kind:     hidden_block_count_x
      - .offset:         36
        .size:           4
        .value_kind:     hidden_block_count_y
      - .offset:         40
        .size:           4
        .value_kind:     hidden_block_count_z
      - .offset:         44
        .size:           2
        .value_kind:     hidden_group_size_x
      - .offset:         46
        .size:           2
        .value_kind:     hidden_group_size_y
      - .offset:         48
        .size:           2
        .value_kind:     hidden_group_size_z
      - .offset:         50
        .size:           2
        .value_kind:     hidden_remainder_x
      - .offset:         52
        .size:           2
        .value_kind:     hidden_remainder_y
      - .offset:         54
        .size:           2
        .value_kind:     hidden_remainder_z
      - .offset:         72
        .size:           8
        .value_kind:     hidden_global_offset_x
      - .offset:         80
        .size:           8
        .value_kind:     hidden_global_offset_y
      - .offset:         88
        .size:           8
        .value_kind:     hidden_global_offset_z
      - .offset:         96
        .size:           2
        .value_kind:     hidden_grid_dims
    .group_segment_fixed_size: 0
    .kernarg_segment_align: 8
    .kernarg_segment_size: 288
    .language:       OpenCL C
    .language_version:
      - 2
      - 0
    .max_flat_workgroup_size: 1024
    .name:           _ZL20testComplexMathFunc1P15HIP_vector_typeIdLj2EES1_S1_15ComplexFuncType
    .private_segment_fixed_size: 0
    .sgpr_count:     16
    .sgpr_spill_count: 0
    .symbol:         _ZL20testComplexMathFunc1P15HIP_vector_typeIdLj2EES1_S1_15ComplexFuncType.kd
    .uniform_work_group_size: 1
    .uses_dynamic_stack: false
    .vgpr_count:     22
    .vgpr_spill_count: 0
    .wavefront_size: 64
  - .args:
      - .address_space:  global
        .offset:         0
        .size:           8
        .value_kind:     global_buffer
      - .address_space:  global
        .offset:         8
        .size:           8
        .value_kind:     global_buffer
      - .offset:         16
        .size:           4
        .value_kind:     by_value
      - .offset:         24
        .size:           4
        .value_kind:     hidden_block_count_x
      - .offset:         28
        .size:           4
        .value_kind:     hidden_block_count_y
      - .offset:         32
        .size:           4
        .value_kind:     hidden_block_count_z
      - .offset:         36
        .size:           2
        .value_kind:     hidden_group_size_x
      - .offset:         38
        .size:           2
        .value_kind:     hidden_group_size_y
      - .offset:         40
        .size:           2
        .value_kind:     hidden_group_size_z
      - .offset:         42
        .size:           2
        .value_kind:     hidden_remainder_x
      - .offset:         44
        .size:           2
        .value_kind:     hidden_remainder_y
      - .offset:         46
        .size:           2
        .value_kind:     hidden_remainder_z
      - .offset:         64
        .size:           8
        .value_kind:     hidden_global_offset_x
      - .offset:         72
        .size:           8
        .value_kind:     hidden_global_offset_y
      - .offset:         80
        .size:           8
        .value_kind:     hidden_global_offset_z
      - .offset:         88
        .size:           2
        .value_kind:     hidden_grid_dims
    .group_segment_fixed_size: 0
    .kernarg_segment_align: 8
    .kernarg_segment_size: 280
    .language:       OpenCL C
    .language_version:
      - 2
      - 0
    .max_flat_workgroup_size: 1024
    .name:           _ZL20testComplexMathFunc2P15HIP_vector_typeIfLj2EEPf15ComplexFuncType
    .private_segment_fixed_size: 0
    .sgpr_count:     16
    .sgpr_spill_count: 0
    .symbol:         _ZL20testComplexMathFunc2P15HIP_vector_typeIfLj2EEPf15ComplexFuncType.kd
    .uniform_work_group_size: 1
    .uses_dynamic_stack: false
    .vgpr_count:     9
    .vgpr_spill_count: 0
    .wavefront_size: 64
  - .args:
      - .address_space:  global
        .offset:         0
        .size:           8
        .value_kind:     global_buffer
      - .address_space:  global
        .offset:         8
        .size:           8
        .value_kind:     global_buffer
      - .offset:         16
        .size:           4
        .value_kind:     by_value
      - .offset:         24
        .size:           4
        .value_kind:     hidden_block_count_x
      - .offset:         28
        .size:           4
        .value_kind:     hidden_block_count_y
      - .offset:         32
        .size:           4
        .value_kind:     hidden_block_count_z
      - .offset:         36
        .size:           2
        .value_kind:     hidden_group_size_x
      - .offset:         38
        .size:           2
        .value_kind:     hidden_group_size_y
      - .offset:         40
        .size:           2
        .value_kind:     hidden_group_size_z
      - .offset:         42
        .size:           2
        .value_kind:     hidden_remainder_x
      - .offset:         44
        .size:           2
        .value_kind:     hidden_remainder_y
      - .offset:         46
        .size:           2
        .value_kind:     hidden_remainder_z
      - .offset:         64
        .size:           8
        .value_kind:     hidden_global_offset_x
      - .offset:         72
        .size:           8
        .value_kind:     hidden_global_offset_y
      - .offset:         80
        .size:           8
        .value_kind:     hidden_global_offset_z
      - .offset:         88
        .size:           2
        .value_kind:     hidden_grid_dims
    .group_segment_fixed_size: 0
    .kernarg_segment_align: 8
    .kernarg_segment_size: 280
    .language:       OpenCL C
    .language_version:
      - 2
      - 0
    .max_flat_workgroup_size: 1024
    .name:           _ZL20testComplexMathFunc2P15HIP_vector_typeIdLj2EEPd15ComplexFuncType
    .private_segment_fixed_size: 0
    .sgpr_count:     13
    .sgpr_spill_count: 0
    .symbol:         _ZL20testComplexMathFunc2P15HIP_vector_typeIdLj2EEPd15ComplexFuncType.kd
    .uniform_work_group_size: 1
    .uses_dynamic_stack: false
    .vgpr_count:     10
    .vgpr_spill_count: 0
    .wavefront_size: 64
amdhsa.target:   amdgcn-amd-amdhsa--gfx906
amdhsa.version:
  - 1
  - 2
...

	.end_amdgpu_metadata
